;; amdgpu-corpus repo=ROCm/rocFFT kind=compiled arch=gfx1030 opt=O3
	.text
	.amdgcn_target "amdgcn-amd-amdhsa--gfx1030"
	.amdhsa_code_object_version 6
	.protected	bluestein_single_back_len210_dim1_sp_op_CI_CI ; -- Begin function bluestein_single_back_len210_dim1_sp_op_CI_CI
	.globl	bluestein_single_back_len210_dim1_sp_op_CI_CI
	.p2align	8
	.type	bluestein_single_back_len210_dim1_sp_op_CI_CI,@function
bluestein_single_back_len210_dim1_sp_op_CI_CI: ; @bluestein_single_back_len210_dim1_sp_op_CI_CI
; %bb.0:
	s_load_dwordx4 s[0:3], s[4:5], 0x28
	v_mul_u32_u24_e32 v1, 0x889, v0
	v_mov_b32_e32 v53, 0
	v_lshrrev_b32_e32 v1, 16, v1
	v_lshl_add_u32 v52, s6, 1, v1
	s_waitcnt lgkmcnt(0)
	v_cmp_gt_u64_e32 vcc_lo, s[0:1], v[52:53]
	s_and_saveexec_b32 s0, vcc_lo
	s_cbranch_execz .LBB0_23
; %bb.1:
	v_mul_lo_u16 v2, v1, 30
	s_clause 0x1
	s_load_dwordx2 s[10:11], s[4:5], 0x0
	s_load_dwordx2 s[8:9], s[4:5], 0x38
	v_and_b32_e32 v1, 1, v1
	v_sub_nc_u16 v0, v0, v2
	v_cmp_eq_u32_e32 vcc_lo, 1, v1
	v_and_b32_e32 v54, 0xffff, v0
	v_cndmask_b32_e64 v53, 0, 0xd2, vcc_lo
	v_cmp_gt_u16_e32 vcc_lo, 21, v0
	v_lshlrev_b32_e32 v55, 3, v54
	v_lshlrev_b32_e32 v50, 3, v53
	s_and_saveexec_b32 s1, vcc_lo
	s_cbranch_execz .LBB0_3
; %bb.2:
	s_load_dwordx2 s[6:7], s[4:5], 0x18
	v_lshl_add_u32 v42, v54, 3, v50
	v_add_nc_u32_e32 v43, v50, v55
	s_waitcnt lgkmcnt(0)
	s_load_dwordx4 s[12:15], s[6:7], 0x0
	s_waitcnt lgkmcnt(0)
	v_mad_u64_u32 v[0:1], null, s14, v52, 0
	v_mad_u64_u32 v[2:3], null, s12, v54, 0
	s_mul_i32 s6, s13, 0xa8
	s_mul_hi_u32 s7, s12, 0xa8
	s_add_i32 s7, s7, s6
	v_mad_u64_u32 v[4:5], null, s15, v52, v[1:2]
	v_mad_u64_u32 v[5:6], null, s13, v54, v[3:4]
	v_mov_b32_e32 v1, v4
	v_lshlrev_b64 v[0:1], 3, v[0:1]
	v_mov_b32_e32 v3, v5
	s_clause 0x3
	global_load_dwordx2 v[4:5], v55, s[10:11]
	global_load_dwordx2 v[6:7], v55, s[10:11] offset:168
	global_load_dwordx2 v[8:9], v55, s[10:11] offset:336
	;; [unrolled: 1-line block ×3, first 2 shown]
	v_add_co_u32 v0, s0, s2, v0
	v_lshlrev_b64 v[2:3], 3, v[2:3]
	v_add_co_ci_u32_e64 v1, s0, s3, v1, s0
	s_mul_i32 s2, s12, 0xa8
	v_add_co_u32 v0, s0, v0, v2
	v_add_co_ci_u32_e64 v1, s0, v1, v3, s0
	v_add_co_u32 v2, s0, v0, s2
	v_add_co_ci_u32_e64 v3, s0, s7, v1, s0
	global_load_dwordx2 v[0:1], v[0:1], off
	v_add_co_u32 v12, s0, v2, s2
	v_add_co_ci_u32_e64 v13, s0, s7, v3, s0
	s_clause 0x3
	global_load_dwordx2 v[16:17], v55, s[10:11] offset:672
	global_load_dwordx2 v[18:19], v55, s[10:11] offset:840
	;; [unrolled: 1-line block ×4, first 2 shown]
	v_add_co_u32 v14, s0, v12, s2
	v_add_co_ci_u32_e64 v15, s0, s7, v13, s0
	v_add_co_u32 v24, s0, v14, s2
	v_add_co_ci_u32_e64 v25, s0, s7, v15, s0
	s_clause 0x2
	global_load_dwordx2 v[2:3], v[2:3], off
	global_load_dwordx2 v[12:13], v[12:13], off
	global_load_dwordx2 v[14:15], v[14:15], off
	v_add_co_u32 v26, s0, v24, s2
	v_add_co_ci_u32_e64 v27, s0, s7, v25, s0
	global_load_dwordx2 v[24:25], v[24:25], off
	v_add_co_u32 v28, s0, v26, s2
	v_add_co_ci_u32_e64 v29, s0, s7, v27, s0
	global_load_dwordx2 v[26:27], v[26:27], off
	v_add_co_u32 v30, s0, v28, s2
	v_add_co_ci_u32_e64 v31, s0, s7, v29, s0
	global_load_dwordx2 v[28:29], v[28:29], off
	v_add_co_u32 v32, s0, v30, s2
	v_add_co_ci_u32_e64 v33, s0, s7, v31, s0
	global_load_dwordx2 v[30:31], v[30:31], off
	v_add_co_u32 v34, s0, v32, s2
	v_add_co_ci_u32_e64 v35, s0, s7, v33, s0
	global_load_dwordx2 v[32:33], v[32:33], off
	s_clause 0x1
	global_load_dwordx2 v[36:37], v55, s[10:11] offset:1344
	global_load_dwordx2 v[38:39], v55, s[10:11] offset:1512
	global_load_dwordx2 v[34:35], v[34:35], off
	s_waitcnt vmcnt(15)
	v_mul_f32_e32 v40, v1, v5
	v_mul_f32_e32 v5, v0, v5
	v_fmac_f32_e32 v40, v0, v4
	v_fma_f32 v41, v1, v4, -v5
	ds_write_b64 v42, v[40:41]
	s_waitcnt vmcnt(10)
	v_mul_f32_e32 v0, v3, v7
	v_mul_f32_e32 v1, v2, v7
	s_waitcnt vmcnt(9)
	v_mul_f32_e32 v4, v13, v9
	s_waitcnt vmcnt(8)
	v_mul_f32_e32 v7, v14, v11
	v_fmac_f32_e32 v0, v2, v6
	v_fma_f32 v1, v3, v6, -v1
	v_mul_f32_e32 v3, v12, v9
	v_mul_f32_e32 v2, v15, v11
	s_waitcnt vmcnt(7)
	v_mul_f32_e32 v9, v24, v17
	v_mul_f32_e32 v6, v25, v17
	v_fmac_f32_e32 v4, v12, v8
	v_fma_f32 v5, v13, v8, -v3
	v_fmac_f32_e32 v2, v14, v10
	v_fma_f32 v3, v15, v10, -v7
	s_waitcnt vmcnt(6)
	v_mul_f32_e32 v8, v27, v19
	v_fma_f32 v7, v25, v16, -v9
	v_mul_f32_e32 v9, v26, v19
	s_waitcnt vmcnt(5)
	v_mul_f32_e32 v10, v29, v21
	v_mul_f32_e32 v11, v28, v21
	v_fmac_f32_e32 v6, v24, v16
	v_fmac_f32_e32 v8, v26, v18
	s_waitcnt vmcnt(4)
	v_mul_f32_e32 v12, v31, v23
	v_mul_f32_e32 v13, v30, v23
	v_fma_f32 v9, v27, v18, -v9
	s_waitcnt vmcnt(2)
	v_mul_f32_e32 v14, v33, v37
	v_mul_f32_e32 v15, v32, v37
	s_waitcnt vmcnt(0)
	v_mul_f32_e32 v16, v35, v39
	v_mul_f32_e32 v17, v34, v39
	v_fmac_f32_e32 v10, v28, v20
	v_fma_f32 v11, v29, v20, -v11
	v_fmac_f32_e32 v12, v30, v22
	v_fma_f32 v13, v31, v22, -v13
	;; [unrolled: 2-line block ×4, first 2 shown]
	ds_write2_b64 v43, v[0:1], v[4:5] offset0:21 offset1:42
	ds_write2_b64 v43, v[2:3], v[6:7] offset0:63 offset1:84
	ds_write2_b64 v43, v[8:9], v[10:11] offset0:105 offset1:126
	ds_write2_b64 v43, v[12:13], v[14:15] offset0:147 offset1:168
	ds_write_b64 v43, v[16:17] offset:1512
.LBB0_3:
	s_or_b32 exec_lo, exec_lo, s1
	s_clause 0x1
	s_load_dwordx2 s[0:1], s[4:5], 0x20
	s_load_dwordx2 s[2:3], s[4:5], 0x8
	s_waitcnt lgkmcnt(0)
	s_barrier
	buffer_gl0_inv
                                        ; implicit-def: $vgpr10
                                        ; implicit-def: $vgpr14
                                        ; implicit-def: $vgpr16
                                        ; implicit-def: $vgpr24
                                        ; implicit-def: $vgpr22
	s_and_saveexec_b32 s4, vcc_lo
	s_cbranch_execz .LBB0_5
; %bb.4:
	v_lshl_add_u32 v0, v53, 3, v55
	ds_read2_b64 v[20:23], v0 offset1:21
	ds_read2_b64 v[8:11], v0 offset0:42 offset1:63
	ds_read2_b64 v[12:15], v0 offset0:84 offset1:105
	;; [unrolled: 1-line block ×4, first 2 shown]
.LBB0_5:
	s_or_b32 exec_lo, exec_lo, s4
	s_waitcnt lgkmcnt(0)
	v_add_f32_e32 v2, v24, v8
	v_sub_f32_e32 v3, v8, v12
	v_sub_f32_e32 v4, v24, v16
	;; [unrolled: 1-line block ×4, first 2 shown]
	v_fma_f32 v28, -0.5, v2, v20
	v_sub_f32_e32 v2, v16, v24
	v_add_f32_e32 v35, v4, v3
	v_sub_f32_e32 v4, v9, v13
	v_sub_f32_e32 v33, v9, v25
	v_fmamk_f32 v29, v34, 0xbf737871, v28
	v_add_f32_e32 v2, v2, v5
	v_sub_f32_e32 v5, v25, v17
	v_fmac_f32_e32 v28, 0x3f737871, v34
	v_add_f32_e32 v6, v17, v13
	v_fmac_f32_e32 v29, 0x3f167918, v33
	v_add_f32_e32 v3, v25, v9
	v_add_f32_e32 v39, v5, v4
	;; [unrolled: 1-line block ×3, first 2 shown]
	v_fmac_f32_e32 v28, 0xbf167918, v33
	v_sub_f32_e32 v5, v26, v18
	v_fma_f32 v36, -0.5, v6, v21
	v_sub_f32_e32 v38, v12, v16
	v_fma_f32 v40, -0.5, v4, v22
	;; [unrolled: 2-line block ×3, first 2 shown]
	v_fmac_f32_e32 v29, 0x3e9e377a, v2
	v_fmac_f32_e32 v28, 0x3e9e377a, v2
	v_sub_f32_e32 v2, v13, v9
	v_sub_f32_e32 v3, v17, v25
	v_add_f32_e32 v42, v4, v5
	v_add_f32_e32 v5, v11, v27
	v_sub_f32_e32 v6, v14, v10
	v_sub_f32_e32 v7, v18, v26
	;; [unrolled: 1-line block ×3, first 2 shown]
	v_fmamk_f32 v32, v38, 0x3f737871, v31
	v_fmac_f32_e32 v31, 0xbf737871, v38
	v_add_f32_e32 v2, v3, v2
	v_add_f32_e32 v3, v10, v26
	v_sub_f32_e32 v51, v14, v18
	v_fma_f32 v5, -0.5, v5, v23
	v_add_f32_e32 v6, v6, v7
	v_add_f32_e32 v7, v15, v19
	v_fmac_f32_e32 v32, 0xbf167918, v37
	v_fmac_f32_e32 v31, 0x3f167918, v37
	v_sub_f32_e32 v45, v11, v27
	v_sub_f32_e32 v44, v15, v19
	v_fma_f32 v3, -0.5, v3, v22
	v_sub_f32_e32 v57, v10, v26
	v_fmamk_f32 v48, v51, 0x3f737871, v5
	v_sub_f32_e32 v41, v15, v11
	v_sub_f32_e32 v43, v19, v27
	v_fma_f32 v56, -0.5, v7, v23
	v_add_f32_e32 v0, v16, v12
	v_fmac_f32_e32 v32, 0x3e9e377a, v2
	v_fmac_f32_e32 v31, 0x3e9e377a, v2
	v_fmamk_f32 v2, v45, 0xbf737871, v40
	v_fmamk_f32 v4, v44, 0xbf737871, v3
	v_fmac_f32_e32 v3, 0x3f737871, v44
	v_fmac_f32_e32 v48, 0xbf167918, v57
	v_add_f32_e32 v7, v41, v43
	v_sub_f32_e32 v41, v11, v15
	v_sub_f32_e32 v43, v27, v19
	v_fmamk_f32 v49, v57, 0x3f737871, v56
	v_fmac_f32_e32 v5, 0xbf737871, v51
	v_fma_f32 v1, -0.5, v0, v20
	v_fmac_f32_e32 v2, 0xbf167918, v44
	v_fmac_f32_e32 v4, 0x3f167918, v45
	;; [unrolled: 1-line block ×4, first 2 shown]
	v_add_f32_e32 v59, v41, v43
	v_fmac_f32_e32 v49, 0x3f167918, v51
	v_fmac_f32_e32 v5, 0x3f167918, v57
	v_fmamk_f32 v0, v33, 0xbf737871, v1
	v_fmamk_f32 v30, v37, 0x3f737871, v36
	v_fmac_f32_e32 v4, 0x3e9e377a, v6
	v_mul_f32_e32 v41, 0x3f737871, v48
	v_fmac_f32_e32 v3, 0x3e9e377a, v6
	v_fmac_f32_e32 v2, 0x3e9e377a, v42
	;; [unrolled: 1-line block ×7, first 2 shown]
	v_mul_f32_e32 v6, 0x3e9e377a, v3
	v_mul_f32_e32 v7, 0x3f4f1bbd, v2
	;; [unrolled: 1-line block ×5, first 2 shown]
	v_fmac_f32_e32 v0, 0x3e9e377a, v35
	v_fmac_f32_e32 v30, 0x3e9e377a, v39
	v_fma_f32 v46, 0x3f737871, v5, -v6
	v_fma_f32 v43, 0x3f167918, v49, -v7
	v_fmac_f32_e32 v47, 0x3e9e377a, v48
	v_fma_f32 v48, 0xbf737871, v3, -v4
	v_fma_f32 v49, 0xbf167918, v2, -v58
	v_sub_f32_e32 v2, v29, v41
	v_sub_f32_e32 v4, v28, v46
	;; [unrolled: 1-line block ×6, first 2 shown]
	v_mul_lo_u16 v58, v54, 10
	s_barrier
	buffer_gl0_inv
	s_and_saveexec_b32 s4, vcc_lo
	s_cbranch_execz .LBB0_7
; %bb.6:
	v_mul_f32_e32 v45, 0x3f737871, v45
	v_mul_f32_e32 v37, 0x3f737871, v37
	;; [unrolled: 1-line block ×5, first 2 shown]
	v_add_f32_e32 v40, v45, v40
	v_mul_f32_e32 v45, 0x3f167918, v51
	v_sub_f32_e32 v36, v36, v37
	v_sub_f32_e32 v37, v56, v57
	v_mul_f32_e32 v42, 0x3e9e377a, v42
	v_add_f32_e32 v40, v44, v40
	v_add_f32_e32 v9, v9, v21
	v_mul_f32_e32 v33, 0x3f737871, v33
	v_mul_f32_e32 v39, 0x3e9e377a, v39
	;; [unrolled: 1-line block ×3, first 2 shown]
	v_sub_f32_e32 v36, v36, v38
	v_sub_f32_e32 v37, v37, v45
	v_add_f32_e32 v38, v42, v40
	v_add_f32_e32 v11, v11, v23
	;; [unrolled: 1-line block ×5, first 2 shown]
	v_mul_f32_e32 v34, 0x3f167918, v34
	v_add_f32_e32 v21, v39, v36
	v_add_f32_e32 v36, v44, v37
	v_mul_f32_e32 v23, 0x3f167918, v38
	v_add_f32_e32 v11, v15, v11
	v_add_f32_e32 v9, v17, v9
	;; [unrolled: 1-line block ×5, first 2 shown]
	v_mul_f32_e32 v35, 0x3e9e377a, v35
	v_fma_f32 v20, 0x3f4f1bbd, v36, -v23
	v_add_f32_e32 v11, v19, v11
	v_add_f32_e32 v12, v25, v9
	;; [unrolled: 1-line block ×5, first 2 shown]
	v_mul_f32_e32 v22, 0x3f167918, v36
	v_add_f32_e32 v14, v27, v11
	v_add_f32_e32 v8, v24, v8
	;; [unrolled: 1-line block ×3, first 2 shown]
	v_sub_f32_e32 v1, v21, v20
	v_add_f32_e32 v23, v35, v10
	v_fmac_f32_e32 v22, 0x3f4f1bbd, v38
	v_add_f32_e32 v19, v21, v20
	v_and_b32_e32 v20, 0xffff, v58
	v_sub_f32_e32 v10, v8, v16
	v_add_f32_e32 v17, v14, v12
	v_add_f32_e32 v18, v23, v22
	;; [unrolled: 1-line block ×3, first 2 shown]
	v_add_lshl_u32 v20, v53, v20, 3
	v_sub_f32_e32 v11, v12, v14
	v_add_f32_e32 v15, v31, v48
	v_add_f32_e32 v13, v32, v47
	;; [unrolled: 1-line block ×6, first 2 shown]
	v_sub_f32_e32 v0, v23, v22
	ds_write_b128 v20, v[16:19]
	ds_write_b128 v20, v[12:15] offset:16
	ds_write_b128 v20, v[8:11] offset:32
	ds_write_b128 v20, v[0:3] offset:48
	ds_write_b128 v20, v[4:7] offset:64
.LBB0_7:
	s_or_b32 exec_lo, exec_lo, s4
	v_and_b32_e32 v0, 0xff, v54
	v_mov_b32_e32 v8, 6
	s_load_dwordx4 s[4:7], s[0:1], 0x0
	s_waitcnt lgkmcnt(0)
	s_barrier
	v_mul_lo_u16 v0, 0xcd, v0
	buffer_gl0_inv
	v_add_lshl_u32 v56, v53, v54, 3
	v_cmp_gt_u16_e64 s0, 10, v54
	v_lshrrev_b16 v0, 11, v0
	v_mul_lo_u16 v1, v0, 10
	v_mul_lo_u16 v0, 0x46, v0
	v_sub_nc_u16 v32, v54, v1
	v_and_b32_e32 v33, 0xfe, v0
	v_mul_u32_u24_sdwa v1, v32, v8 dst_sel:DWORD dst_unused:UNUSED_PAD src0_sel:BYTE_0 src1_sel:DWORD
	v_add_nc_u32_sdwa v32, v33, v32 dst_sel:DWORD dst_unused:UNUSED_PAD src0_sel:DWORD src1_sel:BYTE_0
	v_lshlrev_b32_e32 v1, 3, v1
	v_add_lshl_u32 v59, v53, v32, 3
	s_clause 0x2
	global_load_dwordx4 v[16:19], v1, s[2:3]
	global_load_dwordx4 v[12:15], v1, s[2:3] offset:16
	global_load_dwordx4 v[8:11], v1, s[2:3] offset:32
	ds_read2_b64 v[20:23], v56 offset1:30
	ds_read2_b64 v[24:27], v56 offset0:60 offset1:90
	ds_read2_b64 v[28:31], v56 offset0:120 offset1:150
	ds_read_b64 v[0:1], v56 offset:1440
	s_waitcnt vmcnt(0) lgkmcnt(0)
	s_barrier
	buffer_gl0_inv
	v_mul_f32_e32 v32, v23, v17
	v_mul_f32_e32 v33, v22, v17
	;; [unrolled: 1-line block ×12, first 2 shown]
	v_fma_f32 v22, v22, v16, -v32
	v_fmac_f32_e32 v33, v23, v16
	v_fma_f32 v23, v24, v18, -v34
	v_fmac_f32_e32 v35, v25, v18
	;; [unrolled: 2-line block ×6, first 2 shown]
	v_add_f32_e32 v26, v22, v0
	v_add_f32_e32 v27, v33, v43
	;; [unrolled: 1-line block ×4, first 2 shown]
	v_sub_f32_e32 v0, v22, v0
	v_sub_f32_e32 v22, v33, v43
	;; [unrolled: 1-line block ×4, first 2 shown]
	v_add_f32_e32 v30, v24, v25
	v_add_f32_e32 v31, v37, v39
	v_sub_f32_e32 v24, v25, v24
	v_sub_f32_e32 v25, v39, v37
	v_add_f32_e32 v32, v28, v26
	v_add_f32_e32 v33, v29, v27
	v_sub_f32_e32 v34, v28, v26
	v_sub_f32_e32 v35, v29, v27
	;; [unrolled: 1-line block ×6, first 2 shown]
	v_add_f32_e32 v36, v24, v1
	v_add_f32_e32 v37, v25, v23
	v_sub_f32_e32 v38, v24, v1
	v_sub_f32_e32 v39, v25, v23
	v_sub_f32_e32 v1, v1, v0
	v_add_f32_e32 v30, v30, v32
	v_add_f32_e32 v31, v31, v33
	v_sub_f32_e32 v23, v23, v22
	v_sub_f32_e32 v24, v0, v24
	;; [unrolled: 1-line block ×3, first 2 shown]
	v_add_f32_e32 v0, v36, v0
	v_add_f32_e32 v22, v37, v22
	v_mul_f32_e32 v26, 0x3f4a47b2, v26
	v_mul_f32_e32 v27, 0x3f4a47b2, v27
	;; [unrolled: 1-line block ×7, first 2 shown]
	v_add_f32_e32 v20, v20, v30
	v_add_f32_e32 v21, v21, v31
	v_mul_f32_e32 v39, 0x3f5ff5aa, v23
	v_fmamk_f32 v28, v28, 0x3d64c772, v26
	v_fmamk_f32 v29, v29, 0x3d64c772, v27
	v_fma_f32 v32, 0x3f3bfb3b, v34, -v32
	v_fma_f32 v33, 0x3f3bfb3b, v35, -v33
	;; [unrolled: 1-line block ×4, first 2 shown]
	v_fmamk_f32 v34, v24, 0x3eae86e6, v36
	v_fmamk_f32 v35, v25, 0x3eae86e6, v37
	v_fma_f32 v1, 0x3f5ff5aa, v1, -v36
	v_fma_f32 v36, 0x3f5ff5aa, v23, -v37
	;; [unrolled: 1-line block ×3, first 2 shown]
	v_fmamk_f32 v23, v30, 0xbf955555, v20
	v_fmamk_f32 v24, v31, 0xbf955555, v21
	v_fma_f32 v38, 0xbeae86e6, v25, -v39
	v_fmac_f32_e32 v34, 0x3ee1c552, v0
	v_fmac_f32_e32 v35, 0x3ee1c552, v22
	;; [unrolled: 1-line block ×4, first 2 shown]
	v_add_f32_e32 v0, v28, v23
	v_add_f32_e32 v39, v29, v24
	v_fmac_f32_e32 v36, 0x3ee1c552, v22
	v_fmac_f32_e32 v38, 0x3ee1c552, v22
	v_add_f32_e32 v28, v32, v23
	v_add_f32_e32 v30, v26, v23
	;; [unrolled: 1-line block ×5, first 2 shown]
	v_sub_f32_e32 v23, v39, v34
	v_add_f32_e32 v24, v38, v30
	v_sub_f32_e32 v25, v31, v37
	v_sub_f32_e32 v26, v28, v36
	v_add_f32_e32 v27, v1, v29
	v_add_f32_e32 v28, v36, v28
	v_sub_f32_e32 v29, v29, v1
	v_sub_f32_e32 v30, v30, v38
	v_add_f32_e32 v31, v37, v31
	v_sub_f32_e32 v0, v0, v35
	v_add_f32_e32 v1, v34, v39
	ds_write2_b64 v59, v[20:21], v[22:23] offset1:10
	ds_write2_b64 v59, v[24:25], v[26:27] offset0:20 offset1:30
	ds_write2_b64 v59, v[28:29], v[30:31] offset0:40 offset1:50
	ds_write_b64 v59, v[0:1] offset:480
	s_waitcnt lgkmcnt(0)
	s_barrier
	buffer_gl0_inv
	ds_read2_b64 v[32:35], v56 offset1:30
	ds_read2_b64 v[36:39], v56 offset0:70 offset1:100
	ds_read2_b64 v[40:43], v56 offset0:140 offset1:170
	s_and_saveexec_b32 s1, s0
	s_cbranch_execz .LBB0_9
; %bb.8:
	ds_read2_b64 v[0:3], v56 offset0:60 offset1:130
	ds_read_b64 v[4:5], v56 offset:1600
.LBB0_9:
	s_or_b32 exec_lo, exec_lo, s1
	v_lshlrev_b32_e32 v20, 4, v54
	v_add_co_u32 v22, s1, v54, 60
	v_add_co_ci_u32_e64 v21, null, 0, 0, s1
	global_load_dwordx4 v[24:27], v20, s[2:3] offset:480
	v_add_nc_u32_e32 v20, 0x1e0, v20
	v_lshl_add_u32 v57, v54, 3, v50
	global_load_dwordx4 v[28:31], v20, s[2:3] offset:480
	v_add_co_u32 v20, s1, v54, -10
	v_add_co_ci_u32_e64 v23, null, 0, -1, s1
	v_cndmask_b32_e64 v20, v20, v22, s0
	v_cndmask_b32_e64 v21, v23, v21, s0
	v_lshlrev_b64 v[20:21], 4, v[20:21]
	v_add_co_u32 v20, s1, s2, v20
	v_add_co_ci_u32_e64 v21, s1, s3, v21, s1
	global_load_dwordx4 v[20:23], v[20:21], off offset:480
	s_waitcnt vmcnt(2) lgkmcnt(1)
	v_mul_f32_e32 v44, v37, v25
	v_mul_f32_e32 v45, v36, v25
	s_waitcnt lgkmcnt(0)
	v_mul_f32_e32 v46, v41, v27
	v_mul_f32_e32 v47, v40, v27
	v_fma_f32 v36, v36, v24, -v44
	v_fmac_f32_e32 v45, v37, v24
	v_fma_f32 v37, v40, v26, -v46
	s_waitcnt vmcnt(1)
	v_mul_f32_e32 v40, v39, v29
	v_mul_f32_e32 v44, v38, v29
	;; [unrolled: 1-line block ×4, first 2 shown]
	v_fmac_f32_e32 v47, v41, v26
	v_fma_f32 v38, v38, v28, -v40
	v_fmac_f32_e32 v44, v39, v28
	v_fma_f32 v42, v42, v30, -v46
	v_fmac_f32_e32 v48, v43, v30
	v_add_f32_e32 v39, v32, v36
	v_sub_f32_e32 v43, v45, v47
	v_add_f32_e32 v41, v33, v45
	v_add_f32_e32 v45, v45, v47
	;; [unrolled: 1-line block ×3, first 2 shown]
	v_sub_f32_e32 v46, v36, v37
	v_add_f32_e32 v36, v39, v37
	v_add_f32_e32 v37, v41, v47
	v_fma_f32 v41, -0.5, v45, v33
	v_add_f32_e32 v33, v38, v42
	v_sub_f32_e32 v45, v44, v48
	v_add_f32_e32 v47, v35, v44
	v_add_f32_e32 v44, v44, v48
	v_fma_f32 v40, -0.5, v40, v32
	v_add_f32_e32 v32, v34, v38
	s_waitcnt vmcnt(0)
	v_mul_f32_e32 v51, v3, v21
	v_mul_f32_e32 v60, v2, v21
	;; [unrolled: 1-line block ×4, first 2 shown]
	v_fma_f32 v34, -0.5, v33, v34
	v_fma_f32 v2, v2, v20, -v51
	v_fmac_f32_e32 v60, v3, v20
	v_fma_f32 v3, v4, v22, -v61
	v_fmac_f32_e32 v62, v5, v22
	v_fmac_f32_e32 v35, -0.5, v44
	v_sub_f32_e32 v49, v38, v42
	v_fmamk_f32 v38, v43, 0x3f5db3d7, v40
	v_add_f32_e32 v4, v2, v3
	v_add_f32_e32 v44, v60, v62
	v_fmac_f32_e32 v40, 0xbf5db3d7, v43
	v_add_f32_e32 v42, v32, v42
	v_add_f32_e32 v43, v47, v48
	v_fmamk_f32 v32, v45, 0x3f5db3d7, v34
	v_fmac_f32_e32 v34, 0xbf5db3d7, v45
	v_add_f32_e32 v5, v0, v2
	v_sub_f32_e32 v47, v60, v62
	v_add_f32_e32 v45, v1, v60
	v_fmac_f32_e32 v0, -0.5, v4
	v_sub_f32_e32 v2, v2, v3
	v_fmac_f32_e32 v1, -0.5, v44
	v_fmamk_f32 v39, v46, 0xbf5db3d7, v41
	v_fmac_f32_e32 v41, 0x3f5db3d7, v46
	v_fmamk_f32 v33, v49, 0xbf5db3d7, v35
	v_fmac_f32_e32 v35, 0x3f5db3d7, v49
	v_add_f32_e32 v44, v5, v3
	v_add_f32_e32 v45, v45, v62
	v_fmamk_f32 v46, v47, 0x3f5db3d7, v0
	v_fmac_f32_e32 v0, 0xbf5db3d7, v47
	v_fmamk_f32 v47, v2, 0xbf5db3d7, v1
	v_fmac_f32_e32 v1, 0x3f5db3d7, v2
	ds_write2_b64 v57, v[36:37], v[42:43] offset1:30
	ds_write2_b64 v57, v[38:39], v[32:33] offset0:70 offset1:100
	ds_write2_b64 v57, v[40:41], v[34:35] offset0:140 offset1:170
	s_and_saveexec_b32 s1, s0
	s_cbranch_execz .LBB0_11
; %bb.10:
	ds_write2_b64 v57, v[44:45], v[46:47] offset0:60 offset1:130
	ds_write_b64 v57, v[0:1] offset:1600
.LBB0_11:
	s_or_b32 exec_lo, exec_lo, s1
	s_waitcnt lgkmcnt(0)
	s_barrier
	buffer_gl0_inv
	s_and_saveexec_b32 s1, vcc_lo
	s_cbranch_execz .LBB0_13
; %bb.12:
	s_add_u32 s2, s10, 0x690
	s_addc_u32 s3, s11, 0
	s_clause 0x9
	global_load_dwordx2 v[48:49], v55, s[10:11] offset:1680
	global_load_dwordx2 v[76:77], v55, s[2:3] offset:168
	;; [unrolled: 1-line block ×10, first 2 shown]
	ds_read2_b64 v[2:5], v57 offset1:21
	ds_read2_b64 v[60:63], v57 offset0:42 offset1:63
	ds_read2_b64 v[64:67], v57 offset0:84 offset1:105
	;; [unrolled: 1-line block ×4, first 2 shown]
	s_waitcnt vmcnt(9) lgkmcnt(4)
	v_mul_f32_e32 v51, v3, v49
	v_mul_f32_e32 v94, v2, v49
	s_waitcnt vmcnt(8)
	v_mul_f32_e32 v95, v5, v77
	v_mul_f32_e32 v49, v4, v77
	s_waitcnt vmcnt(7) lgkmcnt(3)
	v_mul_f32_e32 v96, v61, v79
	v_mul_f32_e32 v77, v60, v79
	s_waitcnt vmcnt(6)
	v_mul_f32_e32 v97, v63, v81
	v_mul_f32_e32 v79, v62, v81
	;; [unrolled: 6-line block ×5, first 2 shown]
	v_fma_f32 v93, v2, v48, -v51
	v_fmac_f32_e32 v94, v3, v48
	v_fma_f32 v48, v4, v76, -v95
	v_fmac_f32_e32 v49, v5, v76
	;; [unrolled: 2-line block ×10, first 2 shown]
	ds_write2_b64 v57, v[93:94], v[48:49] offset1:21
	ds_write2_b64 v57, v[76:77], v[78:79] offset0:42 offset1:63
	ds_write2_b64 v57, v[80:81], v[82:83] offset0:84 offset1:105
	;; [unrolled: 1-line block ×4, first 2 shown]
.LBB0_13:
	s_or_b32 exec_lo, exec_lo, s1
	s_waitcnt lgkmcnt(0)
	s_barrier
	buffer_gl0_inv
	s_and_saveexec_b32 s1, vcc_lo
	s_cbranch_execz .LBB0_15
; %bb.14:
	ds_read2_b64 v[0:3], v57 offset0:168 offset1:189
	ds_read2_b64 v[36:39], v57 offset1:21
	ds_read2_b64 v[40:43], v57 offset0:42 offset1:63
	ds_read2_b64 v[32:35], v57 offset0:84 offset1:105
	;; [unrolled: 1-line block ×3, first 2 shown]
	s_waitcnt lgkmcnt(4)
	v_mov_b32_e32 v6, v2
	v_mov_b32_e32 v7, v3
.LBB0_15:
	s_or_b32 exec_lo, exec_lo, s1
	s_waitcnt lgkmcnt(2)
	v_add_f32_e32 v2, v0, v40
	s_waitcnt lgkmcnt(0)
	v_sub_f32_e32 v61, v33, v45
	v_sub_f32_e32 v62, v41, v1
	;; [unrolled: 1-line block ×4, first 2 shown]
	v_fma_f32 v5, -0.5, v2, v36
	v_add_f32_e32 v4, v1, v41
	v_sub_f32_e32 v70, v34, v46
	v_sub_f32_e32 v49, v45, v1
	v_add_f32_e32 v3, v48, v3
	v_fmamk_f32 v60, v61, 0x3f737871, v5
	v_fmac_f32_e32 v5, 0xbf737871, v61
	v_add_f32_e32 v48, v42, v6
	v_fma_f32 v63, -0.5, v4, v37
	v_sub_f32_e32 v4, v33, v41
	v_fmac_f32_e32 v60, 0xbf167918, v62
	v_fmac_f32_e32 v5, 0x3f167918, v62
	v_sub_f32_e32 v69, v35, v47
	v_fma_f32 v48, -0.5, v48, v38
	v_sub_f32_e32 v72, v42, v6
	v_fmac_f32_e32 v60, 0x3e9e377a, v3
	v_fmac_f32_e32 v5, 0x3e9e377a, v3
	v_add_f32_e32 v3, v43, v7
	v_sub_f32_e32 v66, v35, v43
	v_sub_f32_e32 v68, v47, v7
	v_sub_f32_e32 v2, v32, v44
	v_add_f32_e32 v4, v49, v4
	v_fma_f32 v3, -0.5, v3, v39
	v_sub_f32_e32 v71, v43, v7
	v_fmamk_f32 v49, v69, 0x3f737871, v48
	v_sub_f32_e32 v65, v34, v42
	v_sub_f32_e32 v73, v46, v6
	v_fmamk_f32 v67, v70, 0xbf737871, v3
	v_fmac_f32_e32 v3, 0x3f737871, v70
	v_fmac_f32_e32 v48, 0xbf737871, v69
	v_add_f32_e32 v66, v66, v68
	v_sub_f32_e32 v51, v40, v0
	v_fmac_f32_e32 v67, 0x3f167918, v72
	v_fmac_f32_e32 v3, 0xbf167918, v72
	v_fmamk_f32 v64, v2, 0xbf737871, v63
	v_fmac_f32_e32 v63, 0x3f737871, v2
	v_fmac_f32_e32 v49, 0xbf167918, v71
	v_add_f32_e32 v65, v65, v73
	v_fmac_f32_e32 v48, 0x3f167918, v71
	v_fmac_f32_e32 v67, 0x3e9e377a, v66
	;; [unrolled: 1-line block ×7, first 2 shown]
	v_mul_f32_e32 v65, 0xbf737871, v67
	v_mul_f32_e32 v66, 0xbf737871, v3
	;; [unrolled: 1-line block ×4, first 2 shown]
	v_fmac_f32_e32 v64, 0x3e9e377a, v4
	v_fmac_f32_e32 v63, 0x3e9e377a, v4
	;; [unrolled: 1-line block ×6, first 2 shown]
	v_sub_f32_e32 v3, v60, v65
	v_sub_f32_e32 v48, v5, v66
	;; [unrolled: 1-line block ×4, first 2 shown]
	s_barrier
	buffer_gl0_inv
	s_and_saveexec_b32 s1, vcc_lo
	s_cbranch_execz .LBB0_17
; %bb.16:
	v_add_f32_e32 v73, v45, v33
	v_sub_f32_e32 v74, v41, v33
	v_add_f32_e32 v75, v35, v47
	v_sub_f32_e32 v76, v1, v45
	v_add_f32_e32 v77, v34, v46
	v_fma_f32 v73, -0.5, v73, v37
	v_add_f32_e32 v37, v41, v37
	v_fma_f32 v75, -0.5, v75, v39
	;; [unrolled: 2-line block ×3, first 2 shown]
	v_fmamk_f32 v77, v51, 0xbf737871, v73
	v_fmac_f32_e32 v73, 0x3f737871, v51
	v_add_f32_e32 v39, v43, v39
	v_sub_f32_e32 v78, v43, v35
	v_sub_f32_e32 v79, v7, v47
	v_fmamk_f32 v80, v72, 0xbf737871, v75
	v_fmac_f32_e32 v77, 0xbf167918, v2
	v_fmac_f32_e32 v75, 0x3f737871, v72
	;; [unrolled: 1-line block ×3, first 2 shown]
	v_add_f32_e32 v2, v33, v37
	v_add_f32_e32 v33, v35, v39
	;; [unrolled: 1-line block ×3, first 2 shown]
	v_sub_f32_e32 v81, v42, v34
	v_sub_f32_e32 v82, v6, v46
	v_fmamk_f32 v83, v71, 0x3f737871, v76
	v_add_f32_e32 v78, v78, v79
	v_fmac_f32_e32 v76, 0xbf737871, v71
	v_fmac_f32_e32 v75, 0x3f167918, v70
	v_add_f32_e32 v35, v45, v2
	v_add_f32_e32 v33, v47, v33
	v_fma_f32 v45, -0.5, v37, v36
	v_add_f32_e32 v36, v40, v36
	v_add_f32_e32 v37, v42, v38
	v_fmac_f32_e32 v80, 0xbf167918, v70
	v_add_f32_e32 v79, v81, v82
	v_fmac_f32_e32 v76, 0xbf167918, v69
	v_fmac_f32_e32 v75, 0x3e9e377a, v78
	v_add_f32_e32 v7, v7, v33
	v_sub_f32_e32 v33, v40, v32
	v_sub_f32_e32 v38, v0, v44
	v_fmamk_f32 v47, v62, 0x3f737871, v45
	v_add_f32_e32 v32, v32, v36
	v_add_f32_e32 v34, v34, v37
	v_fmac_f32_e32 v45, 0xbf737871, v62
	v_fmac_f32_e32 v83, 0x3f167918, v69
	;; [unrolled: 1-line block ×4, first 2 shown]
	v_mul_f32_e32 v41, 0x3f4f1bbd, v75
	v_add_f32_e32 v33, v38, v33
	v_add_f32_e32 v32, v44, v32
	;; [unrolled: 1-line block ×3, first 2 shown]
	v_fmac_f32_e32 v45, 0xbf167918, v61
	v_mul_f32_e32 v46, 0xbf167918, v75
	v_fmac_f32_e32 v83, 0x3e9e377a, v79
	v_mul_f32_e32 v70, 0xbf4f1bbd, v80
	;; [unrolled: 2-line block ×3, first 2 shown]
	v_fmac_f32_e32 v73, 0x3e9e377a, v74
	v_fmac_f32_e32 v41, 0x3f167918, v76
	v_add_f32_e32 v1, v1, v35
	v_add_f32_e32 v0, v0, v32
	;; [unrolled: 1-line block ×3, first 2 shown]
	v_fmac_f32_e32 v45, 0x3e9e377a, v33
	v_fmac_f32_e32 v46, 0x3f4f1bbd, v76
	v_and_b32_e32 v32, 0xffff, v58
	v_fmac_f32_e32 v77, 0x3e9e377a, v74
	v_fmac_f32_e32 v70, 0x3f167918, v83
	;; [unrolled: 1-line block ×4, first 2 shown]
	v_sub_f32_e32 v2, v73, v41
	v_sub_f32_e32 v34, v0, v6
	v_add_f32_e32 v43, v73, v41
	v_add_f32_e32 v41, v7, v1
	;; [unrolled: 1-line block ×4, first 2 shown]
	v_lshl_add_u32 v0, v32, 3, v50
	v_add_f32_e32 v39, v63, v68
	v_add_f32_e32 v37, v64, v67
	;; [unrolled: 1-line block ×4, first 2 shown]
	v_sub_f32_e32 v35, v1, v7
	v_add_f32_e32 v33, v77, v70
	v_add_f32_e32 v32, v47, v44
	v_sub_f32_e32 v1, v45, v46
	v_sub_f32_e32 v51, v77, v70
	;; [unrolled: 1-line block ×3, first 2 shown]
	ds_write_b128 v0, v[40:43]
	ds_write_b128 v0, v[36:39] offset:16
	ds_write_b128 v0, v[32:35] offset:32
	;; [unrolled: 1-line block ×4, first 2 shown]
.LBB0_17:
	s_or_b32 exec_lo, exec_lo, s1
	s_waitcnt lgkmcnt(0)
	s_barrier
	buffer_gl0_inv
	ds_read2_b64 v[32:35], v56 offset1:30
	ds_read2_b64 v[36:39], v56 offset0:60 offset1:90
	ds_read2_b64 v[40:43], v56 offset0:120 offset1:150
	ds_read_b64 v[0:1], v56 offset:1440
	s_waitcnt lgkmcnt(0)
	s_barrier
	buffer_gl0_inv
	v_mul_f32_e32 v2, v17, v35
	v_mul_f32_e32 v5, v17, v34
	;; [unrolled: 1-line block ×12, first 2 shown]
	v_fmac_f32_e32 v2, v16, v34
	v_fma_f32 v5, v16, v35, -v5
	v_fmac_f32_e32 v6, v18, v36
	v_fma_f32 v7, v18, v37, -v7
	;; [unrolled: 2-line block ×6, first 2 shown]
	v_add_f32_e32 v9, v2, v45
	v_add_f32_e32 v10, v5, v0
	v_sub_f32_e32 v0, v5, v0
	v_add_f32_e32 v5, v6, v44
	v_add_f32_e32 v11, v7, v8
	v_sub_f32_e32 v6, v6, v44
	v_sub_f32_e32 v7, v7, v8
	v_add_f32_e32 v8, v17, v19
	v_add_f32_e32 v13, v12, v1
	v_sub_f32_e32 v14, v19, v17
	;; [unrolled: 4-line block ×3, first 2 shown]
	v_sub_f32_e32 v16, v5, v9
	v_sub_f32_e32 v17, v11, v10
	;; [unrolled: 1-line block ×6, first 2 shown]
	v_add_f32_e32 v5, v14, v6
	v_add_f32_e32 v19, v1, v7
	v_sub_f32_e32 v34, v14, v6
	v_sub_f32_e32 v35, v1, v7
	v_add_f32_e32 v8, v8, v12
	v_add_f32_e32 v12, v13, v15
	v_sub_f32_e32 v36, v6, v2
	v_sub_f32_e32 v7, v7, v0
	;; [unrolled: 1-line block ×4, first 2 shown]
	v_add_f32_e32 v2, v5, v2
	v_add_f32_e32 v0, v19, v0
	;; [unrolled: 1-line block ×4, first 2 shown]
	v_mul_f32_e32 v9, 0x3f4a47b2, v9
	v_mul_f32_e32 v10, 0x3f4a47b2, v10
	;; [unrolled: 1-line block ×8, first 2 shown]
	v_fmamk_f32 v8, v8, 0xbf955555, v5
	v_fmamk_f32 v12, v12, 0xbf955555, v6
	;; [unrolled: 1-line block ×4, first 2 shown]
	v_fma_f32 v15, 0x3f3bfb3b, v17, -v15
	v_fma_f32 v10, 0xbf3bfb3b, v17, -v10
	v_fmamk_f32 v17, v14, 0xbeae86e6, v19
	v_fmamk_f32 v35, v1, 0xbeae86e6, v32
	v_fma_f32 v13, 0x3f3bfb3b, v16, -v13
	v_fma_f32 v9, 0xbf3bfb3b, v16, -v9
	;; [unrolled: 1-line block ×6, first 2 shown]
	v_add_f32_e32 v18, v18, v8
	v_add_f32_e32 v33, v11, v12
	v_fmac_f32_e32 v17, 0xbee1c552, v2
	v_fmac_f32_e32 v35, 0xbee1c552, v0
	v_add_f32_e32 v13, v13, v8
	v_add_f32_e32 v14, v15, v12
	;; [unrolled: 1-line block ×4, first 2 shown]
	v_fmac_f32_e32 v16, 0xbee1c552, v2
	v_fmac_f32_e32 v1, 0xbee1c552, v0
	;; [unrolled: 1-line block ×4, first 2 shown]
	v_add_f32_e32 v7, v35, v18
	v_sub_f32_e32 v8, v33, v17
	v_add_f32_e32 v9, v1, v15
	v_sub_f32_e32 v10, v34, v32
	v_sub_f32_e32 v11, v13, v19
	v_add_f32_e32 v12, v16, v14
	v_add_f32_e32 v13, v19, v13
	v_sub_f32_e32 v14, v14, v16
	v_sub_f32_e32 v15, v15, v1
	v_add_f32_e32 v16, v32, v34
	v_sub_f32_e32 v1, v18, v35
	v_add_f32_e32 v2, v17, v33
	ds_write2_b64 v59, v[5:6], v[7:8] offset1:10
	ds_write2_b64 v59, v[9:10], v[11:12] offset0:20 offset1:30
	ds_write2_b64 v59, v[13:14], v[15:16] offset0:40 offset1:50
	ds_write_b64 v59, v[1:2] offset:480
	s_waitcnt lgkmcnt(0)
	s_barrier
	buffer_gl0_inv
	ds_read2_b64 v[5:8], v56 offset1:30
	ds_read2_b64 v[13:16], v56 offset0:70 offset1:100
	ds_read2_b64 v[9:12], v56 offset0:140 offset1:170
	s_and_saveexec_b32 s1, s0
	s_cbranch_execz .LBB0_19
; %bb.18:
	ds_read2_b64 v[1:4], v56 offset0:60 offset1:130
	ds_read_b64 v[48:49], v56 offset:1600
.LBB0_19:
	s_or_b32 exec_lo, exec_lo, s1
	s_waitcnt lgkmcnt(1)
	v_mul_f32_e32 v0, v25, v14
	v_mul_f32_e32 v17, v25, v13
	s_waitcnt lgkmcnt(0)
	v_mul_f32_e32 v18, v27, v10
	v_mul_f32_e32 v19, v27, v9
	v_fmac_f32_e32 v0, v24, v13
	v_fma_f32 v13, v24, v14, -v17
	v_mul_f32_e32 v14, v29, v16
	v_fmac_f32_e32 v18, v26, v9
	v_mul_f32_e32 v9, v29, v15
	v_fma_f32 v10, v26, v10, -v19
	v_mul_f32_e32 v17, v31, v12
	v_fmac_f32_e32 v14, v28, v15
	v_mul_f32_e32 v15, v31, v11
	v_fma_f32 v16, v28, v16, -v9
	v_add_f32_e32 v9, v0, v18
	v_fmac_f32_e32 v17, v30, v11
	v_add_f32_e32 v11, v5, v0
	v_fma_f32 v19, v30, v12, -v15
	v_add_f32_e32 v12, v13, v10
	v_sub_f32_e32 v15, v13, v10
	v_add_f32_e32 v13, v6, v13
	v_sub_f32_e32 v0, v0, v18
	v_fma_f32 v5, -0.5, v9, v5
	v_fma_f32 v6, -0.5, v12, v6
	v_add_f32_e32 v9, v11, v18
	v_add_f32_e32 v10, v13, v10
	;; [unrolled: 1-line block ×3, first 2 shown]
	v_fmamk_f32 v11, v15, 0xbf5db3d7, v5
	v_fmamk_f32 v12, v0, 0x3f5db3d7, v6
	v_fmac_f32_e32 v6, 0xbf5db3d7, v0
	v_add_f32_e32 v0, v16, v19
	v_fmac_f32_e32 v5, 0x3f5db3d7, v15
	v_add_f32_e32 v15, v7, v14
	v_sub_f32_e32 v18, v16, v19
	v_add_f32_e32 v16, v8, v16
	v_fma_f32 v7, -0.5, v13, v7
	v_fmac_f32_e32 v8, -0.5, v0
	v_sub_f32_e32 v0, v14, v17
	v_add_f32_e32 v13, v15, v17
	v_add_f32_e32 v14, v16, v19
	v_fmamk_f32 v15, v18, 0xbf5db3d7, v7
	v_fmac_f32_e32 v7, 0x3f5db3d7, v18
	v_fmamk_f32 v16, v0, 0x3f5db3d7, v8
	v_fmac_f32_e32 v8, 0xbf5db3d7, v0
	ds_write2_b64 v57, v[9:10], v[13:14] offset1:30
	ds_write2_b64 v57, v[11:12], v[15:16] offset0:70 offset1:100
	ds_write2_b64 v57, v[5:6], v[7:8] offset0:140 offset1:170
	s_and_saveexec_b32 s1, s0
	s_cbranch_execz .LBB0_21
; %bb.20:
	v_mul_f32_e32 v0, v21, v3
	v_mul_f32_e32 v5, v23, v48
	;; [unrolled: 1-line block ×4, first 2 shown]
	v_fma_f32 v0, v20, v4, -v0
	v_fma_f32 v4, v22, v49, -v5
	v_fmac_f32_e32 v6, v20, v3
	v_fmac_f32_e32 v7, v22, v48
	v_add_f32_e32 v9, v2, v0
	v_add_f32_e32 v3, v0, v4
	v_sub_f32_e32 v0, v0, v4
	v_add_f32_e32 v8, v6, v7
	v_sub_f32_e32 v5, v6, v7
	v_add_f32_e32 v6, v1, v6
	v_fma_f32 v2, -0.5, v3, v2
	v_add_f32_e32 v4, v9, v4
	v_fma_f32 v1, -0.5, v8, v1
	v_add_f32_e32 v3, v6, v7
	v_fmamk_f32 v6, v5, 0xbf5db3d7, v2
	v_fmac_f32_e32 v2, 0x3f5db3d7, v5
	v_fmamk_f32 v5, v0, 0x3f5db3d7, v1
	v_fmac_f32_e32 v1, 0xbf5db3d7, v0
	ds_write2_b64 v57, v[3:4], v[1:2] offset0:60 offset1:130
	ds_write_b64 v57, v[5:6] offset:1600
.LBB0_21:
	s_or_b32 exec_lo, exec_lo, s1
	s_waitcnt lgkmcnt(0)
	s_barrier
	buffer_gl0_inv
	s_and_b32 exec_lo, exec_lo, vcc_lo
	s_cbranch_execz .LBB0_23
; %bb.22:
	s_clause 0x9
	global_load_dwordx2 v[16:17], v55, s[10:11]
	global_load_dwordx2 v[18:19], v55, s[10:11] offset:168
	global_load_dwordx2 v[20:21], v55, s[10:11] offset:336
	;; [unrolled: 1-line block ×9, first 2 shown]
	v_mad_u64_u32 v[0:1], null, s6, v52, 0
	v_mad_u64_u32 v[2:3], null, s4, v54, 0
	v_lshl_add_u32 v46, v53, 3, v55
	ds_read_b64 v[36:37], v57
	s_mov_b32 s0, 0x13813814
	s_mov_b32 s1, 0x3f738138
	s_mul_i32 s2, s5, 0xa8
	ds_read2_b64 v[8:11], v46 offset0:105 offset1:126
	v_mad_u64_u32 v[4:5], null, s7, v52, v[1:2]
	ds_read2_b64 v[12:15], v46 offset0:147 offset1:168
	s_mul_hi_u32 s3, s4, 0xa8
	s_mulk_i32 s4, 0xa8
	s_add_i32 s3, s3, s2
	v_mad_u64_u32 v[5:6], null, s5, v54, v[3:4]
	v_mov_b32_e32 v1, v4
	v_lshlrev_b64 v[0:1], 3, v[0:1]
	v_mov_b32_e32 v3, v5
	v_add_co_u32 v6, vcc_lo, s8, v0
	v_lshlrev_b64 v[4:5], 3, v[2:3]
	v_add_co_ci_u32_e32 v7, vcc_lo, s9, v1, vcc_lo
	ds_read2_b64 v[0:3], v46 offset0:21 offset1:42
	v_add_co_u32 v38, vcc_lo, v6, v4
	v_add_co_ci_u32_e32 v39, vcc_lo, v7, v5, vcc_lo
	ds_read2_b64 v[4:7], v46 offset0:63 offset1:84
	ds_read_b64 v[46:47], v46 offset:1512
	v_add_co_u32 v40, vcc_lo, v38, s4
	v_add_co_ci_u32_e32 v41, vcc_lo, s3, v39, vcc_lo
	v_add_co_u32 v42, vcc_lo, v40, s4
	v_add_co_ci_u32_e32 v43, vcc_lo, s3, v41, vcc_lo
	;; [unrolled: 2-line block ×4, first 2 shown]
	s_waitcnt vmcnt(9) lgkmcnt(5)
	v_mul_f32_e32 v50, v37, v17
	v_mul_f32_e32 v17, v36, v17
	s_waitcnt vmcnt(8) lgkmcnt(2)
	v_mul_f32_e32 v51, v1, v19
	v_mul_f32_e32 v19, v0, v19
	s_waitcnt vmcnt(7)
	v_mul_f32_e32 v52, v3, v21
	v_mul_f32_e32 v21, v2, v21
	s_waitcnt vmcnt(6) lgkmcnt(1)
	v_mul_f32_e32 v53, v5, v23
	v_mul_f32_e32 v23, v4, v23
	s_waitcnt vmcnt(5)
	v_mul_f32_e32 v54, v7, v25
	v_mul_f32_e32 v25, v6, v25
	s_waitcnt vmcnt(4)
	v_mul_f32_e32 v55, v9, v27
	v_mul_f32_e32 v27, v8, v27
	v_fmac_f32_e32 v50, v36, v16
	v_fma_f32 v16, v16, v37, -v17
	s_waitcnt vmcnt(3)
	v_mul_f32_e32 v56, v11, v29
	v_mul_f32_e32 v29, v10, v29
	v_fmac_f32_e32 v51, v0, v18
	v_fma_f32 v17, v18, v1, -v19
	s_waitcnt vmcnt(2)
	v_mul_f32_e32 v57, v13, v31
	v_mul_f32_e32 v31, v12, v31
	v_fmac_f32_e32 v52, v2, v20
	v_fma_f32 v18, v20, v3, -v21
	s_waitcnt vmcnt(1)
	v_mul_f32_e32 v58, v15, v33
	v_mul_f32_e32 v33, v14, v33
	v_fmac_f32_e32 v53, v4, v22
	v_fma_f32 v19, v22, v5, -v23
	s_waitcnt vmcnt(0) lgkmcnt(0)
	v_mul_f32_e32 v59, v47, v35
	v_mul_f32_e32 v35, v46, v35
	v_fmac_f32_e32 v54, v6, v24
	v_fma_f32 v20, v24, v7, -v25
	v_fmac_f32_e32 v55, v8, v26
	v_fma_f32 v22, v26, v9, -v27
	v_cvt_f64_f32_e32 v[0:1], v50
	v_cvt_f64_f32_e32 v[2:3], v16
	v_fmac_f32_e32 v56, v10, v28
	v_fma_f32 v26, v28, v11, -v29
	v_cvt_f64_f32_e32 v[4:5], v51
	v_cvt_f64_f32_e32 v[6:7], v17
	;; [unrolled: 4-line block ×5, first 2 shown]
	v_cvt_f64_f32_e32 v[20:21], v55
	v_cvt_f64_f32_e32 v[22:23], v22
	;; [unrolled: 1-line block ×10, first 2 shown]
	v_mul_f64 v[0:1], v[0:1], s[0:1]
	v_mul_f64 v[2:3], v[2:3], s[0:1]
	;; [unrolled: 1-line block ×8, first 2 shown]
	v_add_co_u32 v50, vcc_lo, v48, s4
	v_mul_f64 v[16:17], v[16:17], s[0:1]
	v_mul_f64 v[18:19], v[18:19], s[0:1]
	v_mul_f64 v[20:21], v[20:21], s[0:1]
	v_mul_f64 v[22:23], v[22:23], s[0:1]
	v_mul_f64 v[24:25], v[24:25], s[0:1]
	v_mul_f64 v[26:27], v[26:27], s[0:1]
	v_mul_f64 v[28:29], v[28:29], s[0:1]
	v_mul_f64 v[30:31], v[30:31], s[0:1]
	v_mul_f64 v[32:33], v[32:33], s[0:1]
	v_mul_f64 v[34:35], v[34:35], s[0:1]
	v_mul_f64 v[36:37], v[36:37], s[0:1]
	v_mul_f64 v[46:47], v[46:47], s[0:1]
	v_cvt_f32_f64_e32 v0, v[0:1]
	v_cvt_f32_f64_e32 v1, v[2:3]
	;; [unrolled: 1-line block ×4, first 2 shown]
	v_add_co_ci_u32_e32 v51, vcc_lo, s3, v49, vcc_lo
	v_cvt_f32_f64_e32 v4, v[8:9]
	v_cvt_f32_f64_e32 v5, v[10:11]
	;; [unrolled: 1-line block ×6, first 2 shown]
	v_add_co_u32 v52, vcc_lo, v50, s4
	v_cvt_f32_f64_e32 v10, v[20:21]
	v_cvt_f32_f64_e32 v11, v[22:23]
	;; [unrolled: 1-line block ×4, first 2 shown]
	v_add_co_ci_u32_e32 v53, vcc_lo, s3, v51, vcc_lo
	v_cvt_f32_f64_e32 v14, v[28:29]
	v_cvt_f32_f64_e32 v15, v[30:31]
	;; [unrolled: 1-line block ×6, first 2 shown]
	v_add_co_u32 v20, vcc_lo, v52, s4
	v_add_co_ci_u32_e32 v21, vcc_lo, s3, v53, vcc_lo
	v_add_co_u32 v22, vcc_lo, v20, s4
	v_add_co_ci_u32_e32 v23, vcc_lo, s3, v21, vcc_lo
	;; [unrolled: 2-line block ×3, first 2 shown]
	global_store_dwordx2 v[38:39], v[0:1], off
	global_store_dwordx2 v[40:41], v[2:3], off
	;; [unrolled: 1-line block ×10, first 2 shown]
.LBB0_23:
	s_endpgm
	.section	.rodata,"a",@progbits
	.p2align	6, 0x0
	.amdhsa_kernel bluestein_single_back_len210_dim1_sp_op_CI_CI
		.amdhsa_group_segment_fixed_size 3360
		.amdhsa_private_segment_fixed_size 0
		.amdhsa_kernarg_size 104
		.amdhsa_user_sgpr_count 6
		.amdhsa_user_sgpr_private_segment_buffer 1
		.amdhsa_user_sgpr_dispatch_ptr 0
		.amdhsa_user_sgpr_queue_ptr 0
		.amdhsa_user_sgpr_kernarg_segment_ptr 1
		.amdhsa_user_sgpr_dispatch_id 0
		.amdhsa_user_sgpr_flat_scratch_init 0
		.amdhsa_user_sgpr_private_segment_size 0
		.amdhsa_wavefront_size32 1
		.amdhsa_uses_dynamic_stack 0
		.amdhsa_system_sgpr_private_segment_wavefront_offset 0
		.amdhsa_system_sgpr_workgroup_id_x 1
		.amdhsa_system_sgpr_workgroup_id_y 0
		.amdhsa_system_sgpr_workgroup_id_z 0
		.amdhsa_system_sgpr_workgroup_info 0
		.amdhsa_system_vgpr_workitem_id 0
		.amdhsa_next_free_vgpr 104
		.amdhsa_next_free_sgpr 16
		.amdhsa_reserve_vcc 1
		.amdhsa_reserve_flat_scratch 0
		.amdhsa_float_round_mode_32 0
		.amdhsa_float_round_mode_16_64 0
		.amdhsa_float_denorm_mode_32 3
		.amdhsa_float_denorm_mode_16_64 3
		.amdhsa_dx10_clamp 1
		.amdhsa_ieee_mode 1
		.amdhsa_fp16_overflow 0
		.amdhsa_workgroup_processor_mode 1
		.amdhsa_memory_ordered 1
		.amdhsa_forward_progress 0
		.amdhsa_shared_vgpr_count 0
		.amdhsa_exception_fp_ieee_invalid_op 0
		.amdhsa_exception_fp_denorm_src 0
		.amdhsa_exception_fp_ieee_div_zero 0
		.amdhsa_exception_fp_ieee_overflow 0
		.amdhsa_exception_fp_ieee_underflow 0
		.amdhsa_exception_fp_ieee_inexact 0
		.amdhsa_exception_int_div_zero 0
	.end_amdhsa_kernel
	.text
.Lfunc_end0:
	.size	bluestein_single_back_len210_dim1_sp_op_CI_CI, .Lfunc_end0-bluestein_single_back_len210_dim1_sp_op_CI_CI
                                        ; -- End function
	.section	.AMDGPU.csdata,"",@progbits
; Kernel info:
; codeLenInByte = 7152
; NumSgprs: 18
; NumVgprs: 104
; ScratchSize: 0
; MemoryBound: 0
; FloatMode: 240
; IeeeMode: 1
; LDSByteSize: 3360 bytes/workgroup (compile time only)
; SGPRBlocks: 2
; VGPRBlocks: 12
; NumSGPRsForWavesPerEU: 18
; NumVGPRsForWavesPerEU: 104
; Occupancy: 9
; WaveLimiterHint : 1
; COMPUTE_PGM_RSRC2:SCRATCH_EN: 0
; COMPUTE_PGM_RSRC2:USER_SGPR: 6
; COMPUTE_PGM_RSRC2:TRAP_HANDLER: 0
; COMPUTE_PGM_RSRC2:TGID_X_EN: 1
; COMPUTE_PGM_RSRC2:TGID_Y_EN: 0
; COMPUTE_PGM_RSRC2:TGID_Z_EN: 0
; COMPUTE_PGM_RSRC2:TIDIG_COMP_CNT: 0
	.text
	.p2alignl 6, 3214868480
	.fill 48, 4, 3214868480
	.type	__hip_cuid_50dc3b3dd0aa66ec,@object ; @__hip_cuid_50dc3b3dd0aa66ec
	.section	.bss,"aw",@nobits
	.globl	__hip_cuid_50dc3b3dd0aa66ec
__hip_cuid_50dc3b3dd0aa66ec:
	.byte	0                               ; 0x0
	.size	__hip_cuid_50dc3b3dd0aa66ec, 1

	.ident	"AMD clang version 19.0.0git (https://github.com/RadeonOpenCompute/llvm-project roc-6.4.0 25133 c7fe45cf4b819c5991fe208aaa96edf142730f1d)"
	.section	".note.GNU-stack","",@progbits
	.addrsig
	.addrsig_sym __hip_cuid_50dc3b3dd0aa66ec
	.amdgpu_metadata
---
amdhsa.kernels:
  - .args:
      - .actual_access:  read_only
        .address_space:  global
        .offset:         0
        .size:           8
        .value_kind:     global_buffer
      - .actual_access:  read_only
        .address_space:  global
        .offset:         8
        .size:           8
        .value_kind:     global_buffer
      - .actual_access:  read_only
        .address_space:  global
        .offset:         16
        .size:           8
        .value_kind:     global_buffer
      - .actual_access:  read_only
        .address_space:  global
        .offset:         24
        .size:           8
        .value_kind:     global_buffer
      - .actual_access:  read_only
        .address_space:  global
        .offset:         32
        .size:           8
        .value_kind:     global_buffer
      - .offset:         40
        .size:           8
        .value_kind:     by_value
      - .address_space:  global
        .offset:         48
        .size:           8
        .value_kind:     global_buffer
      - .address_space:  global
        .offset:         56
        .size:           8
        .value_kind:     global_buffer
      - .address_space:  global
        .offset:         64
        .size:           8
        .value_kind:     global_buffer
      - .address_space:  global
        .offset:         72
        .size:           8
        .value_kind:     global_buffer
      - .offset:         80
        .size:           4
        .value_kind:     by_value
      - .address_space:  global
        .offset:         88
        .size:           8
        .value_kind:     global_buffer
      - .address_space:  global
        .offset:         96
        .size:           8
        .value_kind:     global_buffer
    .group_segment_fixed_size: 3360
    .kernarg_segment_align: 8
    .kernarg_segment_size: 104
    .language:       OpenCL C
    .language_version:
      - 2
      - 0
    .max_flat_workgroup_size: 60
    .name:           bluestein_single_back_len210_dim1_sp_op_CI_CI
    .private_segment_fixed_size: 0
    .sgpr_count:     18
    .sgpr_spill_count: 0
    .symbol:         bluestein_single_back_len210_dim1_sp_op_CI_CI.kd
    .uniform_work_group_size: 1
    .uses_dynamic_stack: false
    .vgpr_count:     104
    .vgpr_spill_count: 0
    .wavefront_size: 32
    .workgroup_processor_mode: 1
amdhsa.target:   amdgcn-amd-amdhsa--gfx1030
amdhsa.version:
  - 1
  - 2
...

	.end_amdgpu_metadata
